;; amdgpu-corpus repo=ROCm/rocFFT kind=compiled arch=gfx950 opt=O3
	.text
	.amdgcn_target "amdgcn-amd-amdhsa--gfx950"
	.amdhsa_code_object_version 6
	.protected	bluestein_single_back_len90_dim1_dp_op_CI_CI ; -- Begin function bluestein_single_back_len90_dim1_dp_op_CI_CI
	.globl	bluestein_single_back_len90_dim1_dp_op_CI_CI
	.p2align	8
	.type	bluestein_single_back_len90_dim1_dp_op_CI_CI,@function
bluestein_single_back_len90_dim1_dp_op_CI_CI: ; @bluestein_single_back_len90_dim1_dp_op_CI_CI
; %bb.0:
	s_load_dwordx4 s[12:15], s[0:1], 0x28
	v_mul_u32_u24_e32 v1, 0x1c72, v0
	v_lshrrev_b32_e32 v2, 16, v1
	v_mad_u64_u32 v[156:157], s[2:3], s2, 7, v[2:3]
	v_mov_b32_e32 v153, 0
	v_mov_b32_e32 v157, v153
	s_waitcnt lgkmcnt(0)
	v_cmp_gt_u64_e32 vcc, s[12:13], v[156:157]
	s_and_saveexec_b64 s[2:3], vcc
	s_cbranch_execz .LBB0_23
; %bb.1:
	s_load_dwordx4 s[4:7], s[0:1], 0x18
	s_load_dwordx2 s[12:13], s[0:1], 0x0
	v_mul_lo_u16_e32 v1, 9, v2
	v_sub_u16_e32 v152, v0, v1
	v_mov_b32_e32 v4, s14
	s_waitcnt lgkmcnt(0)
	s_load_dwordx4 s[8:11], s[4:5], 0x0
	v_mov_b32_e32 v5, s15
	v_lshlrev_b32_e32 v40, 4, v152
	global_load_dwordx4 v[12:15], v40, s[12:13]
	v_or_b32_e32 v158, 48, v152
	s_waitcnt lgkmcnt(0)
	v_mad_u64_u32 v[0:1], s[2:3], s10, v156, 0
	v_mov_b32_e32 v2, v1
	v_mad_u64_u32 v[2:3], s[2:3], s11, v156, v[2:3]
	v_mov_b32_e32 v1, v2
	;; [unrolled: 2-line block ×3, first 2 shown]
	v_mad_u64_u32 v[6:7], s[2:3], s9, v152, v[6:7]
	s_mul_i32 s2, s9, 30
	s_mul_hi_u32 s3, s8, 30
	s_add_i32 s3, s3, s2
	s_mul_i32 s2, s8, 30
	v_mov_b32_e32 v3, v6
	v_lshl_add_u64 v[28:29], v[0:1], 4, v[4:5]
	s_lshl_b64 s[10:11], s[2:3], 4
	s_mul_hi_u32 s3, s8, 0xffffffcd
	v_lshl_add_u64 v[4:5], v[2:3], 4, v[28:29]
	s_mul_i32 s2, s9, 0xffffffcd
	s_sub_i32 s3, s3, s8
	v_lshl_add_u64 v[6:7], v[4:5], 0, s[10:11]
	s_add_i32 s15, s3, s2
	s_mul_i32 s14, s8, 0xffffffcd
	global_load_dwordx4 v[44:47], v[4:5], off
	global_load_dwordx4 v[36:39], v[6:7], off
	global_load_dwordx4 v[0:3], v40, s[12:13] offset:480
	v_lshl_add_u64 v[8:9], v[6:7], 0, s[10:11]
	s_lshl_b64 s[2:3], s[14:15], 4
	global_load_dwordx4 v[4:7], v40, s[12:13] offset:960
	global_load_dwordx4 v[48:51], v[8:9], off
	v_lshl_add_u64 v[8:9], v[8:9], 0, s[2:3]
	v_lshl_add_u64 v[20:21], v[8:9], 0, s[10:11]
	global_load_dwordx4 v[52:55], v[8:9], off
	global_load_dwordx4 v[16:19], v40, s[12:13] offset:144
	v_lshl_add_u64 v[24:25], v[20:21], 0, s[10:11]
	global_load_dwordx4 v[56:59], v[20:21], off
	global_load_dwordx4 v[8:11], v40, s[12:13] offset:624
	v_lshl_add_u64 v[30:31], v[24:25], 0, s[2:3]
	v_mad_u64_u32 v[32:33], s[2:3], s8, v158, 0
	v_mov_b32_e32 v34, v33
	global_load_dwordx4 v[60:63], v[24:25], off
	global_load_dwordx4 v[20:23], v40, s[12:13] offset:1104
	v_mad_u64_u32 v[34:35], s[2:3], s9, v158, v[34:35]
	v_mov_b32_e32 v33, v34
	global_load_dwordx4 v[64:67], v[30:31], off
	global_load_dwordx4 v[24:27], v40, s[12:13] offset:288
	v_lshl_add_u64 v[28:29], v[32:33], 4, v[28:29]
	global_load_dwordx4 v[68:71], v[28:29], off
	global_load_dwordx4 v[32:35], v40, s[12:13] offset:768
	v_mov_b32_e32 v28, 0x3c0
	v_mad_u64_u32 v[42:43], s[2:3], s8, v28, v[30:31]
	s_mul_i32 s2, s9, 0x3c0
	s_nop 0
	v_add_u32_e32 v43, s2, v43
	global_load_dwordx4 v[28:31], v40, s[12:13] offset:1248
	global_load_dwordx4 v[72:75], v[42:43], off
	s_mov_b32 s4, 0x24924925
	v_mul_hi_u32 v76, v156, s4
	v_sub_u32_e32 v77, v156, v76
	v_lshrrev_b32_e32 v77, 1, v77
	v_add_u32_e32 v76, v77, v76
	v_mov_b32_e32 v41, v153
	v_lshrrev_b32_e32 v76, 2, v76
	v_lshl_add_u64 v[154:155], s[12:13], 0, v[40:41]
	v_mul_lo_u32 v41, v76, 7
	v_sub_u32_e32 v41, v156, v41
	v_mul_u32_u24_e32 v41, 0x5a, v41
	v_lshlrev_b32_e32 v159, 4, v41
	v_add_u32_e32 v157, v40, v159
	s_load_dwordx2 s[2:3], s[0:1], 0x38
	v_cmp_gt_u16_e32 vcc, 3, v152
	s_load_dwordx4 s[4:7], s[6:7], 0x0
	s_waitcnt vmcnt(16)
	v_mul_f64 v[76:77], v[46:47], v[14:15]
	v_mul_f64 v[40:41], v[44:45], v[14:15]
	v_fmac_f64_e32 v[76:77], v[44:45], v[12:13]
	v_fma_f64 v[78:79], v[46:47], v[12:13], -v[40:41]
	s_waitcnt vmcnt(14)
	v_mul_f64 v[44:45], v[38:39], v[2:3]
	v_mul_f64 v[40:41], v[36:37], v[2:3]
	v_fmac_f64_e32 v[44:45], v[36:37], v[0:1]
	v_fma_f64 v[46:47], v[38:39], v[0:1], -v[40:41]
	;; [unrolled: 5-line block ×3, first 2 shown]
	ds_write_b128 v157, v[36:39] offset:960
	s_waitcnt vmcnt(10)
	v_mul_f64 v[36:37], v[52:53], v[18:19]
	ds_write_b128 v157, v[44:47] offset:480
	v_fma_f64 v[46:47], v[54:55], v[16:17], -v[36:37]
	s_waitcnt vmcnt(8)
	v_mul_f64 v[36:37], v[58:59], v[10:11]
	v_mul_f64 v[38:39], v[56:57], v[10:11]
	v_fmac_f64_e32 v[36:37], v[56:57], v[8:9]
	v_fma_f64 v[38:39], v[58:59], v[8:9], -v[38:39]
	ds_write_b128 v157, v[36:39] offset:624
	s_waitcnt vmcnt(6)
	v_mul_f64 v[36:37], v[62:63], v[22:23]
	v_mul_f64 v[38:39], v[60:61], v[22:23]
	v_fmac_f64_e32 v[36:37], v[60:61], v[20:21]
	v_fma_f64 v[38:39], v[62:63], v[20:21], -v[38:39]
	ds_write_b128 v157, v[36:39] offset:1104
	s_waitcnt vmcnt(4)
	v_mul_f64 v[36:37], v[66:67], v[26:27]
	v_mul_f64 v[38:39], v[64:65], v[26:27]
	v_fmac_f64_e32 v[36:37], v[64:65], v[24:25]
	v_fma_f64 v[38:39], v[66:67], v[24:25], -v[38:39]
	ds_write_b128 v157, v[36:39] offset:288
	s_waitcnt vmcnt(2)
	v_mul_f64 v[36:37], v[70:71], v[34:35]
	v_mul_f64 v[38:39], v[68:69], v[34:35]
	v_fmac_f64_e32 v[36:37], v[68:69], v[32:33]
	v_fma_f64 v[38:39], v[70:71], v[32:33], -v[38:39]
	v_mul_f64 v[44:45], v[54:55], v[18:19]
	ds_write_b128 v157, v[36:39] offset:768
	s_waitcnt vmcnt(0)
	v_mul_f64 v[36:37], v[74:75], v[30:31]
	v_mul_f64 v[38:39], v[72:73], v[30:31]
	v_fmac_f64_e32 v[44:45], v[52:53], v[16:17]
	v_fmac_f64_e32 v[36:37], v[72:73], v[28:29]
	v_fma_f64 v[38:39], v[74:75], v[28:29], -v[38:39]
	ds_write_b128 v157, v[76:79]
	ds_write_b128 v157, v[44:47] offset:144
	ds_write_b128 v157, v[36:39] offset:1248
	s_and_saveexec_b64 s[8:9], vcc
	s_cbranch_execz .LBB0_3
; %bb.2:
	v_lshl_add_u64 v[48:49], s[14:15], 4, v[42:43]
	v_lshl_add_u64 v[56:57], v[48:49], 0, s[10:11]
	global_load_dwordx4 v[36:39], v[48:49], off
	global_load_dwordx4 v[40:43], v[154:155], off offset:432
	global_load_dwordx4 v[44:47], v[154:155], off offset:912
	s_nop 0
	global_load_dwordx4 v[48:51], v[56:57], off
	global_load_dwordx4 v[52:55], v[154:155], off offset:1392
	v_lshl_add_u64 v[56:57], v[56:57], 0, s[10:11]
	global_load_dwordx4 v[56:59], v[56:57], off
	s_waitcnt vmcnt(4)
	v_mul_f64 v[60:61], v[38:39], v[42:43]
	v_mul_f64 v[42:43], v[36:37], v[42:43]
	v_fmac_f64_e32 v[60:61], v[36:37], v[40:41]
	v_fma_f64 v[62:63], v[38:39], v[40:41], -v[42:43]
	s_waitcnt vmcnt(2)
	v_mul_f64 v[36:37], v[50:51], v[46:47]
	v_mul_f64 v[38:39], v[48:49], v[46:47]
	s_waitcnt vmcnt(0)
	v_mul_f64 v[40:41], v[58:59], v[54:55]
	v_mul_f64 v[42:43], v[56:57], v[54:55]
	v_fmac_f64_e32 v[36:37], v[48:49], v[44:45]
	v_fma_f64 v[38:39], v[50:51], v[44:45], -v[38:39]
	v_fmac_f64_e32 v[40:41], v[56:57], v[52:53]
	v_fma_f64 v[42:43], v[58:59], v[52:53], -v[42:43]
	ds_write_b128 v157, v[60:63] offset:432
	ds_write_b128 v157, v[36:39] offset:912
	;; [unrolled: 1-line block ×3, first 2 shown]
.LBB0_3:
	s_or_b64 exec, exec, s[8:9]
	s_waitcnt lgkmcnt(0)
	; wave barrier
	s_waitcnt lgkmcnt(0)
	ds_read_b128 v[44:47], v157
	ds_read_b128 v[40:43], v157 offset:144
	ds_read_b128 v[76:79], v157 offset:960
	;; [unrolled: 1-line block ×8, first 2 shown]
                                        ; implicit-def: $vgpr68_vgpr69
                                        ; implicit-def: $vgpr48_vgpr49
                                        ; implicit-def: $vgpr60_vgpr61
	s_and_saveexec_b64 s[8:9], vcc
	s_cbranch_execz .LBB0_5
; %bb.4:
	ds_read_b128 v[68:71], v157 offset:432
	ds_read_b128 v[48:51], v157 offset:912
	ds_read_b128 v[60:63], v157 offset:1392
.LBB0_5:
	s_or_b64 exec, exec, s[8:9]
	s_waitcnt lgkmcnt(4)
	v_add_f64 v[86:87], v[80:81], v[76:77]
	s_mov_b32 s8, 0xe8584caa
	v_add_f64 v[84:85], v[44:45], v[80:81]
	v_fmac_f64_e32 v[44:45], -0.5, v[86:87]
	v_add_f64 v[86:87], v[82:83], -v[78:79]
	s_mov_b32 s9, 0x3febb67a
	s_mov_b32 s11, 0xbfebb67a
	;; [unrolled: 1-line block ×3, first 2 shown]
	v_fma_f64 v[92:93], s[8:9], v[86:87], v[44:45]
	v_fmac_f64_e32 v[44:45], s[10:11], v[86:87]
	v_add_f64 v[86:87], v[46:47], v[82:83]
	v_add_f64 v[86:87], v[86:87], v[78:79]
	;; [unrolled: 1-line block ×4, first 2 shown]
	v_fmac_f64_e32 v[46:47], -0.5, v[78:79]
	v_add_f64 v[76:77], v[80:81], -v[76:77]
	s_waitcnt lgkmcnt(2)
	v_add_f64 v[78:79], v[72:73], v[64:65]
	v_fma_f64 v[94:95], s[10:11], v[76:77], v[46:47]
	v_fmac_f64_e32 v[46:47], s[8:9], v[76:77]
	v_add_f64 v[76:77], v[40:41], v[72:73]
	v_fmac_f64_e32 v[40:41], -0.5, v[78:79]
	v_add_f64 v[78:79], v[74:75], -v[66:67]
	v_fma_f64 v[80:81], s[8:9], v[78:79], v[40:41]
	v_fmac_f64_e32 v[40:41], s[10:11], v[78:79]
	v_add_f64 v[78:79], v[42:43], v[74:75]
	v_add_f64 v[78:79], v[78:79], v[66:67]
	;; [unrolled: 1-line block ×4, first 2 shown]
	v_fmac_f64_e32 v[42:43], -0.5, v[66:67]
	v_add_f64 v[64:65], v[72:73], -v[64:65]
	s_waitcnt lgkmcnt(0)
	v_add_f64 v[66:67], v[52:53], v[56:57]
	v_fma_f64 v[82:83], s[10:11], v[64:65], v[42:43]
	v_fmac_f64_e32 v[42:43], s[8:9], v[64:65]
	v_add_f64 v[64:65], v[36:37], v[52:53]
	v_fmac_f64_e32 v[36:37], -0.5, v[66:67]
	v_add_f64 v[66:67], v[54:55], -v[58:59]
	v_fma_f64 v[96:97], s[8:9], v[66:67], v[36:37]
	v_fmac_f64_e32 v[36:37], s[10:11], v[66:67]
	v_add_f64 v[66:67], v[38:39], v[54:55]
	v_add_f64 v[54:55], v[54:55], v[58:59]
	v_fmac_f64_e32 v[38:39], -0.5, v[54:55]
	v_add_f64 v[52:53], v[52:53], -v[56:57]
	v_fma_f64 v[98:99], s[10:11], v[52:53], v[38:39]
	v_fmac_f64_e32 v[38:39], s[8:9], v[52:53]
	v_add_f64 v[52:53], v[68:69], v[48:49]
	v_add_f64 v[72:73], v[52:53], v[60:61]
	v_add_f64 v[52:53], v[48:49], v[60:61]
	v_fmac_f64_e32 v[68:69], -0.5, v[52:53]
	v_add_f64 v[52:53], v[50:51], -v[62:63]
	v_fma_f64 v[88:89], s[8:9], v[52:53], v[68:69]
	v_fmac_f64_e32 v[68:69], s[10:11], v[52:53]
	v_add_f64 v[52:53], v[70:71], v[50:51]
	v_add_f64 v[50:51], v[50:51], v[62:63]
	v_fmac_f64_e32 v[70:71], -0.5, v[50:51]
	v_add_f64 v[48:49], v[48:49], -v[60:61]
	v_fma_f64 v[90:91], s[10:11], v[48:49], v[70:71]
	v_fmac_f64_e32 v[70:71], s[8:9], v[48:49]
	v_mul_lo_u16_e32 v48, 3, v152
	s_load_dwordx2 s[0:1], s[0:1], 0x8
	v_lshl_add_u64 v[118:119], v[152:153], 0, 9
	v_lshl_add_u32 v160, v48, 4, v159
	s_waitcnt lgkmcnt(0)
	; wave barrier
	s_waitcnt lgkmcnt(0)
	ds_write_b128 v160, v[84:87]
	ds_write_b128 v160, v[92:95] offset:16
	ds_write_b128 v160, v[44:47] offset:32
	v_mul_u32_u24_e32 v44, 3, v118
	v_lshl_add_u64 v[120:121], v[152:153], 0, 18
	v_lshl_add_u32 v161, v44, 4, v159
	v_lshl_add_u64 v[116:117], v[152:153], 0, 27
	ds_write_b128 v161, v[76:79]
	ds_write_b128 v161, v[80:83] offset:16
	ds_write_b128 v161, v[40:43] offset:32
	v_mul_u32_u24_e32 v40, 3, v120
	v_add_f64 v[64:65], v[64:65], v[56:57]
	v_add_f64 v[66:67], v[66:67], v[58:59]
	;; [unrolled: 1-line block ×3, first 2 shown]
	v_lshl_add_u32 v162, v40, 4, v159
	v_mul_u32_u24_e32 v163, 3, v116
	ds_write_b128 v162, v[64:67]
	ds_write_b128 v162, v[96:99] offset:16
	ds_write_b128 v162, v[36:39] offset:32
	s_and_saveexec_b64 s[8:9], vcc
	s_cbranch_execz .LBB0_7
; %bb.6:
	v_lshl_add_u32 v36, v163, 4, v159
	ds_write_b128 v36, v[72:75]
	ds_write_b128 v36, v[88:91] offset:16
	ds_write_b128 v36, v[68:71] offset:32
.LBB0_7:
	s_or_b64 exec, exec, s[8:9]
	s_waitcnt lgkmcnt(0)
	; wave barrier
	s_waitcnt lgkmcnt(0)
	ds_read_b128 v[84:87], v157
	ds_read_b128 v[80:83], v157 offset:144
	ds_read_b128 v[96:99], v157 offset:960
	ds_read_b128 v[92:95], v157 offset:1104
	ds_read_b128 v[104:107], v157 offset:480
	ds_read_b128 v[76:79], v157 offset:288
	ds_read_b128 v[100:103], v157 offset:624
	ds_read_b128 v[112:115], v157 offset:768
	ds_read_b128 v[108:111], v157 offset:1248
	s_and_saveexec_b64 s[8:9], vcc
	s_cbranch_execz .LBB0_9
; %bb.8:
	ds_read_b128 v[72:75], v157 offset:432
	ds_read_b128 v[88:91], v157 offset:912
	;; [unrolled: 1-line block ×3, first 2 shown]
.LBB0_9:
	s_or_b64 exec, exec, s[8:9]
	s_movk_i32 s8, 0xab
	v_mul_lo_u16_sdwa v36, v152, s8 dst_sel:DWORD dst_unused:UNUSED_PAD src0_sel:BYTE_0 src1_sel:DWORD
	v_lshrrev_b16_e32 v140, 9, v36
	v_mul_lo_u16_e32 v36, 3, v140
	v_sub_u16_e32 v141, v152, v36
	v_lshlrev_b16_e32 v36, 1, v141
	v_and_b32_e32 v36, 0xfe, v36
	v_lshlrev_b32_e32 v36, 4, v36
	global_load_dwordx4 v[44:47], v36, s[0:1] offset:16
	global_load_dwordx4 v[48:51], v36, s[0:1]
	v_mul_lo_u16_sdwa v36, v118, s8 dst_sel:DWORD dst_unused:UNUSED_PAD src0_sel:BYTE_0 src1_sel:DWORD
	v_lshrrev_b16_e32 v144, 9, v36
	v_mul_lo_u16_sdwa v37, v120, s8 dst_sel:DWORD dst_unused:UNUSED_PAD src0_sel:BYTE_0 src1_sel:DWORD
	v_mul_lo_u16_e32 v36, 3, v144
	v_lshrrev_b16_e32 v142, 9, v37
	v_sub_u16_e32 v145, v118, v36
	v_mul_lo_u16_e32 v37, 3, v142
	v_lshlrev_b16_e32 v36, 1, v145
	v_sub_u16_e32 v143, v120, v37
	v_mov_b32_e32 v37, 5
	v_and_b32_e32 v36, 0xfe, v36
	v_lshlrev_b32_sdwa v37, v37, v143 dst_sel:DWORD dst_unused:UNUSED_PAD src0_sel:DWORD src1_sel:BYTE_0
	v_lshlrev_b32_e32 v36, 4, v36
	global_load_dwordx4 v[52:55], v37, s[0:1] offset:16
	global_load_dwordx4 v[56:59], v37, s[0:1]
	global_load_dwordx4 v[60:63], v36, s[0:1] offset:16
	global_load_dwordx4 v[64:67], v36, s[0:1]
	v_mul_lo_u16_sdwa v36, v116, s8 dst_sel:DWORD dst_unused:UNUSED_PAD src0_sel:BYTE_0 src1_sel:DWORD
	v_lshrrev_b16_e32 v36, 9, v36
	v_mul_lo_u16_e32 v36, 3, v36
	v_sub_u16_e32 v153, v116, v36
	v_lshlrev_b16_e32 v36, 1, v153
	v_and_b32_e32 v36, 0xfe, v36
	v_lshlrev_b32_e32 v36, 4, v36
	global_load_dwordx4 v[40:43], v36, s[0:1]
	s_nop 0
	global_load_dwordx4 v[36:39], v36, s[0:1] offset:16
	s_mov_b32 s8, 0xe8584caa
	s_mov_b32 s9, 0x3febb67a
	;; [unrolled: 1-line block ×3, first 2 shown]
	s_waitcnt lgkmcnt(0)
	; wave barrier
	s_waitcnt vmcnt(7) lgkmcnt(0)
	v_mul_f64 v[120:121], v[96:97], v[46:47]
	v_fmac_f64_e32 v[120:121], v[98:99], v[44:45]
	s_waitcnt vmcnt(5)
	v_mul_f64 v[128:129], v[108:109], v[54:55]
	s_waitcnt vmcnt(4)
	v_mul_f64 v[116:117], v[114:115], v[58:59]
	v_mul_f64 v[126:127], v[112:113], v[58:59]
	v_mul_f64 v[118:119], v[110:111], v[54:55]
	v_fmac_f64_e32 v[128:129], v[110:111], v[52:53]
	v_mul_f64 v[110:111], v[106:107], v[50:51]
	v_fma_f64 v[130:131], v[112:113], v[56:57], -v[116:117]
	v_fmac_f64_e32 v[126:127], v[114:115], v[56:57]
	v_fma_f64 v[108:109], v[108:109], v[52:53], -v[118:119]
	v_mul_f64 v[116:117], v[104:105], v[50:51]
	v_mul_f64 v[118:119], v[98:99], v[46:47]
	s_waitcnt vmcnt(2)
	v_mul_f64 v[124:125], v[100:101], v[66:67]
	s_waitcnt vmcnt(0)
	v_mul_f64 v[114:115], v[68:69], v[38:39]
	v_fma_f64 v[104:105], v[104:105], v[48:49], -v[110:111]
	v_mul_f64 v[122:123], v[102:103], v[66:67]
	v_mul_f64 v[132:133], v[94:95], v[62:63]
	;; [unrolled: 1-line block ×5, first 2 shown]
	v_fma_f64 v[96:97], v[96:97], v[44:45], -v[118:119]
	v_fmac_f64_e32 v[124:125], v[102:103], v[64:65]
	v_fmac_f64_e32 v[114:115], v[70:71], v[36:37]
	v_add_f64 v[70:71], v[84:85], v[104:105]
	v_mul_f64 v[136:137], v[90:91], v[42:43]
	v_fmac_f64_e32 v[116:117], v[106:107], v[48:49]
	v_fma_f64 v[106:107], v[100:101], v[64:65], -v[122:123]
	v_fma_f64 v[102:103], v[92:93], v[60:61], -v[132:133]
	v_fmac_f64_e32 v[134:135], v[94:95], v[60:61]
	v_fmac_f64_e32 v[112:113], v[90:91], v[40:41]
	v_add_f64 v[90:91], v[70:71], v[96:97]
	v_add_f64 v[70:71], v[82:83], v[124:125]
	;; [unrolled: 1-line block ×3, first 2 shown]
	v_add_f64 v[100:101], v[116:117], -v[120:121]
	v_add_f64 v[94:95], v[86:87], v[116:117]
	v_add_f64 v[98:99], v[116:117], v[120:121]
	v_add_f64 v[104:105], v[104:105], -v[96:97]
	v_add_f64 v[116:117], v[106:107], v[102:103]
	v_add_f64 v[96:97], v[70:71], v[134:135]
	v_add_f64 v[70:71], v[124:125], v[134:135]
	v_add_f64 v[110:111], v[80:81], v[106:107]
	v_add_f64 v[118:119], v[124:125], -v[134:135]
	v_fmac_f64_e32 v[80:81], -0.5, v[116:117]
	v_fmac_f64_e32 v[82:83], -0.5, v[70:71]
	v_add_f64 v[70:71], v[106:107], -v[102:103]
	v_fma_f64 v[116:117], s[8:9], v[118:119], v[80:81]
	v_fmac_f64_e32 v[80:81], s[10:11], v[118:119]
	v_fma_f64 v[118:119], s[10:11], v[70:71], v[82:83]
	v_fmac_f64_e32 v[82:83], s[8:9], v[70:71]
	v_add_f64 v[70:71], v[76:77], v[130:131]
	v_fmac_f64_e32 v[84:85], -0.5, v[92:93]
	v_add_f64 v[92:93], v[94:95], v[120:121]
	v_add_f64 v[120:121], v[70:71], v[108:109]
	;; [unrolled: 1-line block ×3, first 2 shown]
	v_fmac_f64_e32 v[76:77], -0.5, v[70:71]
	v_add_f64 v[70:71], v[126:127], -v[128:129]
	v_fma_f64 v[124:125], s[8:9], v[70:71], v[76:77]
	v_fmac_f64_e32 v[76:77], s[10:11], v[70:71]
	v_add_f64 v[70:71], v[78:79], v[126:127]
	v_add_f64 v[122:123], v[70:71], v[128:129]
	;; [unrolled: 1-line block ×3, first 2 shown]
	v_fma_f64 v[88:89], v[88:89], v[40:41], -v[136:137]
	v_fma_f64 v[68:69], v[68:69], v[36:37], -v[138:139]
	v_fmac_f64_e32 v[78:79], -0.5, v[70:71]
	v_add_f64 v[70:71], v[130:131], -v[108:109]
	v_fma_f64 v[126:127], s[10:11], v[70:71], v[78:79]
	v_fmac_f64_e32 v[78:79], s[8:9], v[70:71]
	v_add_f64 v[70:71], v[88:89], v[68:69]
	v_fmac_f64_e32 v[86:87], -0.5, v[98:99]
	v_fma_f64 v[108:109], -0.5, v[70:71], v[72:73]
	v_add_f64 v[70:71], v[112:113], -v[114:115]
	v_fma_f64 v[98:99], s[8:9], v[100:101], v[84:85]
	v_fmac_f64_e32 v[84:85], s[10:11], v[100:101]
	v_fma_f64 v[100:101], s[10:11], v[104:105], v[86:87]
	v_fmac_f64_e32 v[86:87], s[8:9], v[104:105]
	;; [unrolled: 2-line block ×3, first 2 shown]
	v_add_f64 v[70:71], v[112:113], v[114:115]
	v_add_f64 v[94:95], v[110:111], v[102:103]
	v_fma_f64 v[110:111], -0.5, v[70:71], v[74:75]
	v_add_f64 v[70:71], v[88:89], -v[68:69]
	v_fma_f64 v[106:107], s[10:11], v[70:71], v[110:111]
	v_fmac_f64_e32 v[110:111], s[8:9], v[70:71]
	v_mad_legacy_u16 v70, v140, 9, v141
	v_and_b32_e32 v70, 0xff, v70
	v_lshl_add_u32 v164, v70, 4, v159
	v_mad_legacy_u16 v70, v144, 9, v145
	v_and_b32_e32 v70, 0xff, v70
	v_lshl_add_u32 v165, v70, 4, v159
	v_mul_u32_u24_e32 v70, 9, v142
	v_add_u32_sdwa v70, v70, v143 dst_sel:DWORD dst_unused:UNUSED_PAD src0_sel:DWORD src1_sel:BYTE_0
	v_lshl_add_u32 v166, v70, 4, v159
	ds_write_b128 v164, v[90:93]
	ds_write_b128 v164, v[98:101] offset:48
	ds_write_b128 v164, v[84:87] offset:96
	ds_write_b128 v165, v[94:97]
	ds_write_b128 v165, v[116:119] offset:48
	ds_write_b128 v165, v[80:83] offset:96
	ds_write_b128 v166, v[120:123]
	ds_write_b128 v166, v[124:127] offset:48
	ds_write_b128 v166, v[76:79] offset:96
	s_and_saveexec_b64 s[8:9], vcc
	s_cbranch_execz .LBB0_11
; %bb.10:
	v_add_f64 v[72:73], v[72:73], v[88:89]
	v_add_f64 v[70:71], v[74:75], v[112:113]
	;; [unrolled: 1-line block ×3, first 2 shown]
	v_and_b32_e32 v72, 0xff, v153
	v_add_f64 v[70:71], v[70:71], v[114:115]
	v_lshl_add_u32 v72, v72, 4, v159
	ds_write_b128 v72, v[68:71] offset:1296
	ds_write_b128 v72, v[104:107] offset:1344
	;; [unrolled: 1-line block ×3, first 2 shown]
.LBB0_11:
	s_or_b64 exec, exec, s[8:9]
	s_movk_i32 s8, 0x90
	v_mov_b64_e32 v[68:69], s[0:1]
	v_mad_u64_u32 v[100:101], s[0:1], v152, s8, v[68:69]
	s_waitcnt lgkmcnt(0)
	; wave barrier
	s_waitcnt lgkmcnt(0)
	global_load_dwordx4 v[80:83], v[100:101], off offset:96
	global_load_dwordx4 v[76:79], v[100:101], off offset:112
	;; [unrolled: 1-line block ×8, first 2 shown]
	s_nop 0
	global_load_dwordx4 v[100:103], v[100:101], off offset:224
	ds_read_b128 v[112:115], v157
	ds_read_b128 v[116:119], v157 offset:144
	ds_read_b128 v[120:123], v157 offset:288
	;; [unrolled: 1-line block ×9, first 2 shown]
	s_mov_b32 s14, 0x134454ff
	s_mov_b32 s15, 0x3fee6f0e
	;; [unrolled: 1-line block ×12, first 2 shown]
	s_waitcnt vmcnt(8) lgkmcnt(8)
	v_mul_f64 v[168:169], v[118:119], v[82:83]
	v_mul_f64 v[170:171], v[116:117], v[82:83]
	s_waitcnt vmcnt(7) lgkmcnt(7)
	v_mul_f64 v[172:173], v[122:123], v[78:79]
	s_waitcnt vmcnt(6) lgkmcnt(6)
	;; [unrolled: 2-line block ×4, first 2 shown]
	v_mul_f64 v[188:189], v[138:139], v[94:95]
	v_mul_f64 v[174:175], v[120:121], v[78:79]
	;; [unrolled: 1-line block ×4, first 2 shown]
	s_waitcnt vmcnt(1) lgkmcnt(1)
	v_mul_f64 v[196:197], v[146:147], v[86:87]
	v_mul_f64 v[198:199], v[144:145], v[86:87]
	v_fma_f64 v[168:169], v[116:117], v[80:81], -v[168:169]
	v_fmac_f64_e32 v[170:171], v[118:119], v[80:81]
	v_fma_f64 v[116:117], v[120:121], v[76:77], -v[172:173]
	v_fma_f64 v[118:119], v[124:125], v[72:73], -v[176:177]
	;; [unrolled: 1-line block ×4, first 2 shown]
	v_mul_f64 v[182:183], v[128:129], v[70:71]
	v_mul_f64 v[184:185], v[134:135], v[98:99]
	;; [unrolled: 1-line block ×5, first 2 shown]
	v_fmac_f64_e32 v[174:175], v[122:123], v[76:77]
	v_fmac_f64_e32 v[186:187], v[134:135], v[96:97]
	v_fma_f64 v[128:129], v[144:145], v[84:85], -v[196:197]
	v_fmac_f64_e32 v[198:199], v[146:147], v[84:85]
	v_add_f64 v[134:135], v[120:121], v[124:125]
	v_fmac_f64_e32 v[178:179], v[126:127], v[72:73]
	v_fmac_f64_e32 v[182:183], v[130:131], v[68:69]
	v_fma_f64 v[122:123], v[132:133], v[96:97], -v[184:185]
	v_fmac_f64_e32 v[190:191], v[138:139], v[92:93]
	v_fma_f64 v[126:127], v[140:141], v[88:89], -v[192:193]
	v_fmac_f64_e32 v[194:195], v[142:143], v[88:89]
	v_add_f64 v[132:133], v[112:113], v[116:117]
	v_add_f64 v[136:137], v[174:175], -v[198:199]
	v_add_f64 v[140:141], v[116:117], -v[120:121]
	;; [unrolled: 1-line block ×3, first 2 shown]
	v_fma_f64 v[146:147], -0.5, v[134:135], v[112:113]
	v_add_f64 v[138:139], v[182:183], -v[190:191]
	v_add_f64 v[144:145], v[116:117], v[128:129]
	v_add_f64 v[132:133], v[132:133], v[120:121]
	;; [unrolled: 1-line block ×3, first 2 shown]
	v_fma_f64 v[140:141], s[14:15], v[136:137], v[146:147]
	v_fmac_f64_e32 v[146:147], s[8:9], v[136:137]
	v_add_f64 v[132:133], v[132:133], v[124:125]
	v_fmac_f64_e32 v[140:141], s[16:17], v[138:139]
	v_fmac_f64_e32 v[146:147], s[10:11], v[138:139]
	v_fmac_f64_e32 v[112:113], -0.5, v[144:145]
	v_add_f64 v[142:143], v[132:133], v[128:129]
	v_fmac_f64_e32 v[140:141], s[0:1], v[134:135]
	v_fmac_f64_e32 v[146:147], s[0:1], v[134:135]
	v_fma_f64 v[144:145], s[8:9], v[138:139], v[112:113]
	v_add_f64 v[132:133], v[120:121], -v[116:117]
	v_add_f64 v[134:135], v[124:125], -v[128:129]
	v_fmac_f64_e32 v[112:113], s[14:15], v[138:139]
	v_fmac_f64_e32 v[144:145], s[16:17], v[136:137]
	v_add_f64 v[132:133], v[132:133], v[134:135]
	v_fmac_f64_e32 v[112:113], s[10:11], v[136:137]
	v_fmac_f64_e32 v[144:145], s[0:1], v[132:133]
	;; [unrolled: 1-line block ×3, first 2 shown]
	v_add_f64 v[132:133], v[114:115], v[174:175]
	v_add_f64 v[132:133], v[132:133], v[182:183]
	;; [unrolled: 1-line block ×5, first 2 shown]
	s_waitcnt vmcnt(0) lgkmcnt(0)
	v_mul_f64 v[202:203], v[148:149], v[102:103]
	v_fma_f64 v[172:173], -0.5, v[132:133], v[114:115]
	v_add_f64 v[116:117], v[116:117], -v[128:129]
	v_mul_f64 v[200:201], v[150:151], v[102:103]
	v_fmac_f64_e32 v[202:203], v[150:151], v[100:101]
	v_fma_f64 v[150:151], s[8:9], v[116:117], v[172:173]
	v_add_f64 v[120:121], v[120:121], -v[124:125]
	v_add_f64 v[124:125], v[174:175], -v[182:183]
	;; [unrolled: 1-line block ×3, first 2 shown]
	v_fmac_f64_e32 v[172:173], s[14:15], v[116:117]
	v_fmac_f64_e32 v[150:151], s[10:11], v[120:121]
	v_add_f64 v[124:125], v[124:125], v[128:129]
	v_fmac_f64_e32 v[172:173], s[16:17], v[120:121]
	v_fmac_f64_e32 v[150:151], s[0:1], v[124:125]
	;; [unrolled: 1-line block ×3, first 2 shown]
	v_add_f64 v[124:125], v[174:175], v[198:199]
	v_fmac_f64_e32 v[114:115], -0.5, v[124:125]
	v_fma_f64 v[176:177], s[14:15], v[120:121], v[114:115]
	v_fmac_f64_e32 v[114:115], s[8:9], v[120:121]
	v_fmac_f64_e32 v[176:177], s[10:11], v[116:117]
	;; [unrolled: 1-line block ×3, first 2 shown]
	v_add_f64 v[116:117], v[168:169], v[118:119]
	v_add_f64 v[116:117], v[116:117], v[122:123]
	v_fma_f64 v[130:131], v[148:149], v[100:101], -v[200:201]
	v_add_f64 v[116:117], v[116:117], v[126:127]
	v_add_f64 v[124:125], v[182:183], -v[174:175]
	v_add_f64 v[128:129], v[190:191], -v[198:199]
	v_add_f64 v[136:137], v[116:117], v[130:131]
	v_add_f64 v[116:117], v[122:123], v[126:127]
	;; [unrolled: 1-line block ×3, first 2 shown]
	v_fma_f64 v[134:135], -0.5, v[116:117], v[168:169]
	v_add_f64 v[116:117], v[178:179], -v[202:203]
	v_fmac_f64_e32 v[176:177], s[0:1], v[124:125]
	v_fmac_f64_e32 v[114:115], s[0:1], v[124:125]
	v_fma_f64 v[148:149], s[14:15], v[116:117], v[134:135]
	v_add_f64 v[120:121], v[186:187], -v[194:195]
	v_add_f64 v[124:125], v[118:119], -v[122:123]
	;; [unrolled: 1-line block ×3, first 2 shown]
	v_fmac_f64_e32 v[134:135], s[8:9], v[116:117]
	v_fmac_f64_e32 v[148:149], s[16:17], v[120:121]
	v_add_f64 v[124:125], v[124:125], v[128:129]
	v_fmac_f64_e32 v[134:135], s[10:11], v[120:121]
	v_fmac_f64_e32 v[148:149], s[0:1], v[124:125]
	;; [unrolled: 1-line block ×3, first 2 shown]
	v_add_f64 v[124:125], v[118:119], v[130:131]
	v_fmac_f64_e32 v[168:169], -0.5, v[124:125]
	v_fma_f64 v[174:175], s[8:9], v[120:121], v[168:169]
	v_fmac_f64_e32 v[168:169], s[14:15], v[120:121]
	v_fmac_f64_e32 v[174:175], s[16:17], v[116:117]
	;; [unrolled: 1-line block ×3, first 2 shown]
	v_add_f64 v[116:117], v[170:171], v[178:179]
	v_add_f64 v[116:117], v[116:117], v[186:187]
	;; [unrolled: 1-line block ×5, first 2 shown]
	v_fma_f64 v[182:183], -0.5, v[116:117], v[170:171]
	v_add_f64 v[116:117], v[118:119], -v[130:131]
	v_add_f64 v[124:125], v[122:123], -v[118:119]
	v_add_f64 v[128:129], v[126:127], -v[130:131]
	v_fma_f64 v[130:131], s[8:9], v[116:117], v[182:183]
	v_add_f64 v[118:119], v[122:123], -v[126:127]
	v_add_f64 v[120:121], v[178:179], -v[186:187]
	;; [unrolled: 1-line block ×3, first 2 shown]
	v_fmac_f64_e32 v[182:183], s[14:15], v[116:117]
	v_fmac_f64_e32 v[130:131], s[10:11], v[118:119]
	v_add_f64 v[120:121], v[120:121], v[122:123]
	v_fmac_f64_e32 v[182:183], s[16:17], v[118:119]
	v_fmac_f64_e32 v[130:131], s[0:1], v[120:121]
	;; [unrolled: 1-line block ×3, first 2 shown]
	v_add_f64 v[120:121], v[178:179], v[202:203]
	v_fmac_f64_e32 v[170:171], -0.5, v[120:121]
	v_fma_f64 v[126:127], s[14:15], v[118:119], v[170:171]
	v_add_f64 v[120:121], v[186:187], -v[178:179]
	v_add_f64 v[122:123], v[194:195], -v[202:203]
	v_add_f64 v[124:125], v[124:125], v[128:129]
	v_fmac_f64_e32 v[126:127], s[10:11], v[116:117]
	v_add_f64 v[120:121], v[120:121], v[122:123]
	v_fmac_f64_e32 v[170:171], s[8:9], v[118:119]
	v_fmac_f64_e32 v[168:169], s[0:1], v[124:125]
	v_fmac_f64_e32 v[126:127], s[0:1], v[120:121]
	v_fmac_f64_e32 v[170:171], s[16:17], v[116:117]
	v_fmac_f64_e32 v[174:175], s[0:1], v[124:125]
	v_fmac_f64_e32 v[170:171], s[0:1], v[120:121]
	v_mul_f64 v[178:179], v[130:131], s[16:17]
	v_mul_f64 v[184:185], v[126:127], s[14:15]
	;; [unrolled: 1-line block ×4, first 2 shown]
	v_fmac_f64_e32 v[178:179], s[18:19], v[148:149]
	v_fmac_f64_e32 v[184:185], s[0:1], v[174:175]
	v_fma_f64 v[186:187], v[170:171], s[14:15], -v[118:119]
	v_mul_f64 v[118:119], v[134:135], s[18:19]
	v_fmac_f64_e32 v[190:191], s[18:19], v[130:131]
	v_mul_f64 v[174:175], v[174:175], s[8:9]
	v_mul_f64 v[130:131], v[170:171], s[0:1]
	;; [unrolled: 1-line block ×3, first 2 shown]
	v_add_f64 v[116:117], v[142:143], v[136:137]
	v_fma_f64 v[188:189], v[182:183], s[16:17], -v[118:119]
	v_add_f64 v[118:119], v[138:139], v[180:181]
	v_fmac_f64_e32 v[174:175], s[0:1], v[126:127]
	v_fma_f64 v[168:169], v[168:169], s[8:9], -v[130:131]
	v_fma_f64 v[170:171], v[134:135], s[10:11], -v[148:149]
	v_add_f64 v[120:121], v[140:141], v[178:179]
	v_add_f64 v[124:125], v[144:145], v[184:185]
	;; [unrolled: 1-line block ×8, first 2 shown]
	v_add_f64 v[136:137], v[142:143], -v[136:137]
	v_add_f64 v[140:141], v[140:141], -v[178:179]
	;; [unrolled: 1-line block ×10, first 2 shown]
	ds_write_b128 v157, v[116:119]
	ds_write_b128 v157, v[120:123] offset:144
	ds_write_b128 v157, v[124:127] offset:288
	ds_write_b128 v157, v[128:131] offset:432
	ds_write_b128 v157, v[132:135] offset:576
	ds_write_b128 v157, v[136:139] offset:720
	ds_write_b128 v157, v[140:143] offset:864
	ds_write_b128 v157, v[144:147] offset:1008
	ds_write_b128 v157, v[148:151] offset:1152
	ds_write_b128 v157, v[112:115] offset:1296
	s_waitcnt lgkmcnt(0)
	; wave barrier
	s_waitcnt lgkmcnt(0)
	global_load_dwordx4 v[116:119], v[154:155], off offset:1440
	s_add_u32 s0, s12, 0x5a0
	s_addc_u32 s1, s13, 0
	v_lshlrev_b32_e32 v120, 4, v152
	global_load_dwordx4 v[122:125], v120, s[0:1] offset:480
	global_load_dwordx4 v[126:129], v120, s[0:1] offset:960
	;; [unrolled: 1-line block ×8, first 2 shown]
	ds_read_b128 v[172:175], v157
	ds_read_b128 v[176:179], v157 offset:144
	ds_read_b128 v[184:187], v157 offset:480
	s_waitcnt vmcnt(8) lgkmcnt(2)
	v_mul_f64 v[150:151], v[174:175], v[118:119]
	v_mul_f64 v[182:183], v[172:173], v[118:119]
	v_fma_f64 v[180:181], v[172:173], v[116:117], -v[150:151]
	v_fmac_f64_e32 v[182:183], v[174:175], v[116:117]
	ds_read_b128 v[116:119], v157 offset:288
	ds_write_b128 v157, v[180:183]
	ds_read_b128 v[180:183], v157 offset:960
	s_waitcnt vmcnt(7) lgkmcnt(3)
	v_mul_f64 v[150:151], v[186:187], v[124:125]
	v_mul_f64 v[174:175], v[184:185], v[124:125]
	v_fma_f64 v[172:173], v[184:185], v[122:123], -v[150:151]
	v_fmac_f64_e32 v[174:175], v[186:187], v[122:123]
	ds_read_b128 v[122:125], v157 offset:1104
	ds_write_b128 v157, v[172:175] offset:480
	s_waitcnt vmcnt(6) lgkmcnt(2)
	v_mul_f64 v[150:151], v[182:183], v[128:129]
	v_mul_f64 v[174:175], v[180:181], v[128:129]
	v_fma_f64 v[172:173], v[180:181], v[126:127], -v[150:151]
	v_fmac_f64_e32 v[174:175], v[182:183], v[126:127]
	ds_write_b128 v157, v[172:175] offset:960
	ds_read_b128 v[172:175], v157 offset:624
	s_waitcnt vmcnt(5)
	v_mul_f64 v[126:127], v[178:179], v[132:133]
	v_mul_f64 v[128:129], v[176:177], v[132:133]
	v_fma_f64 v[126:127], v[176:177], v[130:131], -v[126:127]
	v_fmac_f64_e32 v[128:129], v[178:179], v[130:131]
	ds_write_b128 v157, v[126:129] offset:144
	ds_read_b128 v[126:129], v157 offset:768
	s_waitcnt vmcnt(4) lgkmcnt(2)
	v_mul_f64 v[130:131], v[174:175], v[136:137]
	v_mul_f64 v[132:133], v[172:173], v[136:137]
	v_fma_f64 v[130:131], v[172:173], v[134:135], -v[130:131]
	v_fmac_f64_e32 v[132:133], v[174:175], v[134:135]
	ds_write_b128 v157, v[130:133] offset:624
	s_waitcnt vmcnt(3)
	v_mul_f64 v[130:131], v[124:125], v[140:141]
	v_mul_f64 v[132:133], v[122:123], v[140:141]
	v_fma_f64 v[130:131], v[122:123], v[138:139], -v[130:131]
	v_fmac_f64_e32 v[132:133], v[124:125], v[138:139]
	s_waitcnt vmcnt(2)
	v_mul_f64 v[122:123], v[118:119], v[144:145]
	v_mul_f64 v[124:125], v[116:117], v[144:145]
	v_fma_f64 v[122:123], v[116:117], v[142:143], -v[122:123]
	v_fmac_f64_e32 v[124:125], v[118:119], v[142:143]
	ds_read_b128 v[116:119], v157 offset:1248
	ds_write_b128 v157, v[122:125] offset:288
	s_waitcnt vmcnt(1) lgkmcnt(3)
	v_mul_f64 v[122:123], v[128:129], v[148:149]
	v_mul_f64 v[124:125], v[126:127], v[148:149]
	v_fma_f64 v[122:123], v[126:127], v[146:147], -v[122:123]
	v_fmac_f64_e32 v[124:125], v[128:129], v[146:147]
	ds_write_b128 v157, v[122:125] offset:768
	s_waitcnt vmcnt(0) lgkmcnt(2)
	v_mul_f64 v[122:123], v[118:119], v[170:171]
	v_mul_f64 v[124:125], v[116:117], v[170:171]
	v_fma_f64 v[122:123], v[116:117], v[168:169], -v[122:123]
	v_fmac_f64_e32 v[124:125], v[118:119], v[168:169]
	ds_write_b128 v157, v[130:133] offset:1104
	ds_write_b128 v157, v[122:125] offset:1248
	s_and_saveexec_b64 s[8:9], vcc
	s_cbranch_execz .LBB0_13
; %bb.12:
	v_mov_b32_e32 v121, 0
	v_lshl_add_u64 v[124:125], s[0:1], 0, v[120:121]
	global_load_dwordx4 v[116:119], v[124:125], off offset:432
	global_load_dwordx4 v[120:123], v[124:125], off offset:912
	s_nop 0
	global_load_dwordx4 v[124:127], v[124:125], off offset:1392
	ds_read_b128 v[128:131], v157 offset:432
	ds_read_b128 v[132:135], v157 offset:912
	;; [unrolled: 1-line block ×3, first 2 shown]
	s_waitcnt vmcnt(2) lgkmcnt(2)
	v_mul_f64 v[140:141], v[130:131], v[118:119]
	v_mul_f64 v[142:143], v[128:129], v[118:119]
	s_waitcnt vmcnt(1) lgkmcnt(1)
	v_mul_f64 v[144:145], v[134:135], v[122:123]
	v_mul_f64 v[118:119], v[132:133], v[122:123]
	;; [unrolled: 3-line block ×3, first 2 shown]
	v_fma_f64 v[140:141], v[128:129], v[116:117], -v[140:141]
	v_fmac_f64_e32 v[142:143], v[130:131], v[116:117]
	v_fma_f64 v[116:117], v[132:133], v[120:121], -v[144:145]
	v_fmac_f64_e32 v[118:119], v[134:135], v[120:121]
	;; [unrolled: 2-line block ×3, first 2 shown]
	ds_write_b128 v157, v[140:143] offset:432
	ds_write_b128 v157, v[116:119] offset:912
	;; [unrolled: 1-line block ×3, first 2 shown]
.LBB0_13:
	s_or_b64 exec, exec, s[8:9]
	s_waitcnt lgkmcnt(0)
	; wave barrier
	s_waitcnt lgkmcnt(0)
	ds_read_b128 v[132:135], v157
	ds_read_b128 v[128:131], v157 offset:144
	ds_read_b128 v[144:147], v157 offset:960
	;; [unrolled: 1-line block ×8, first 2 shown]
	s_and_saveexec_b64 s[0:1], vcc
	s_cbranch_execz .LBB0_15
; %bb.14:
	ds_read_b128 v[112:115], v157 offset:432
	ds_read_b128 v[104:107], v157 offset:912
	;; [unrolled: 1-line block ×3, first 2 shown]
.LBB0_15:
	s_or_b64 exec, exec, s[0:1]
	s_waitcnt lgkmcnt(4)
	v_add_f64 v[170:171], v[148:149], v[144:145]
	s_mov_b32 s0, 0xe8584caa
	v_add_f64 v[168:169], v[132:133], v[148:149]
	v_fmac_f64_e32 v[132:133], -0.5, v[170:171]
	v_add_f64 v[170:171], v[150:151], -v[146:147]
	s_mov_b32 s1, 0xbfebb67a
	s_mov_b32 s9, 0x3febb67a
	;; [unrolled: 1-line block ×3, first 2 shown]
	v_fma_f64 v[172:173], s[0:1], v[170:171], v[132:133]
	v_fmac_f64_e32 v[132:133], s[8:9], v[170:171]
	v_add_f64 v[170:171], v[134:135], v[150:151]
	v_add_f64 v[170:171], v[170:171], v[146:147]
	;; [unrolled: 1-line block ×4, first 2 shown]
	v_fmac_f64_e32 v[134:135], -0.5, v[146:147]
	v_add_f64 v[144:145], v[148:149], -v[144:145]
	s_waitcnt lgkmcnt(2)
	v_add_f64 v[146:147], v[140:141], v[136:137]
	v_fma_f64 v[174:175], s[8:9], v[144:145], v[134:135]
	v_fmac_f64_e32 v[134:135], s[0:1], v[144:145]
	v_add_f64 v[144:145], v[128:129], v[140:141]
	v_fmac_f64_e32 v[128:129], -0.5, v[146:147]
	v_add_f64 v[146:147], v[142:143], -v[138:139]
	v_fma_f64 v[148:149], s[0:1], v[146:147], v[128:129]
	v_fmac_f64_e32 v[128:129], s[8:9], v[146:147]
	v_add_f64 v[146:147], v[130:131], v[142:143]
	v_add_f64 v[146:147], v[146:147], v[138:139]
	;; [unrolled: 1-line block ×4, first 2 shown]
	v_fmac_f64_e32 v[130:131], -0.5, v[138:139]
	v_add_f64 v[136:137], v[140:141], -v[136:137]
	s_waitcnt lgkmcnt(0)
	v_add_f64 v[138:139], v[116:117], v[120:121]
	v_fma_f64 v[150:151], s[8:9], v[136:137], v[130:131]
	v_fmac_f64_e32 v[130:131], s[0:1], v[136:137]
	v_add_f64 v[136:137], v[124:125], v[116:117]
	v_fmac_f64_e32 v[124:125], -0.5, v[138:139]
	v_add_f64 v[138:139], v[118:119], -v[122:123]
	v_fma_f64 v[140:141], s[0:1], v[138:139], v[124:125]
	v_fmac_f64_e32 v[124:125], s[8:9], v[138:139]
	v_add_f64 v[138:139], v[126:127], v[118:119]
	v_add_f64 v[118:119], v[118:119], v[122:123]
	v_fmac_f64_e32 v[126:127], -0.5, v[118:119]
	v_add_f64 v[116:117], v[116:117], -v[120:121]
	v_add_f64 v[118:119], v[104:105], v[108:109]
	v_fma_f64 v[142:143], s[8:9], v[116:117], v[126:127]
	v_fmac_f64_e32 v[126:127], s[0:1], v[116:117]
	v_add_f64 v[116:117], v[112:113], v[104:105]
	v_fmac_f64_e32 v[112:113], -0.5, v[118:119]
	v_add_f64 v[118:119], v[106:107], -v[110:111]
	v_add_f64 v[136:137], v[136:137], v[120:121]
	v_fma_f64 v[120:121], s[0:1], v[118:119], v[112:113]
	v_fmac_f64_e32 v[112:113], s[8:9], v[118:119]
	v_add_f64 v[118:119], v[114:115], v[106:107]
	v_add_f64 v[106:107], v[106:107], v[110:111]
	v_fmac_f64_e32 v[114:115], -0.5, v[106:107]
	v_add_f64 v[104:105], v[104:105], -v[108:109]
	v_add_f64 v[138:139], v[138:139], v[122:123]
	v_add_f64 v[116:117], v[116:117], v[108:109]
	v_add_f64 v[118:119], v[118:119], v[110:111]
	v_fma_f64 v[122:123], s[8:9], v[104:105], v[114:115]
	v_fmac_f64_e32 v[114:115], s[0:1], v[104:105]
	s_waitcnt lgkmcnt(0)
	; wave barrier
	ds_write_b128 v160, v[168:171]
	ds_write_b128 v160, v[172:175] offset:16
	ds_write_b128 v160, v[132:135] offset:32
	ds_write_b128 v161, v[144:147]
	ds_write_b128 v161, v[148:151] offset:16
	ds_write_b128 v161, v[128:131] offset:32
	;; [unrolled: 3-line block ×3, first 2 shown]
	s_and_saveexec_b64 s[0:1], vcc
	s_cbranch_execz .LBB0_17
; %bb.16:
	v_lshl_add_u32 v104, v163, 4, v159
	ds_write_b128 v104, v[116:119]
	ds_write_b128 v104, v[120:123] offset:16
	ds_write_b128 v104, v[112:115] offset:32
.LBB0_17:
	s_or_b64 exec, exec, s[0:1]
	s_waitcnt lgkmcnt(0)
	; wave barrier
	s_waitcnt lgkmcnt(0)
	ds_read_b128 v[124:127], v157
	ds_read_b128 v[108:111], v157 offset:144
	ds_read_b128 v[140:143], v157 offset:960
	;; [unrolled: 1-line block ×8, first 2 shown]
	s_and_saveexec_b64 s[0:1], vcc
	s_cbranch_execz .LBB0_19
; %bb.18:
	ds_read_b128 v[116:119], v157 offset:432
	ds_read_b128 v[120:123], v157 offset:912
	;; [unrolled: 1-line block ×3, first 2 shown]
.LBB0_19:
	s_or_b64 exec, exec, s[0:1]
	s_waitcnt lgkmcnt(4)
	v_mul_f64 v[160:161], v[50:51], v[150:151]
	v_fmac_f64_e32 v[160:161], v[48:49], v[148:149]
	v_mul_f64 v[50:51], v[50:51], v[148:149]
	v_mul_f64 v[148:149], v[46:47], v[142:143]
	;; [unrolled: 1-line block ×3, first 2 shown]
	v_fmac_f64_e32 v[148:149], v[44:45], v[140:141]
	v_fma_f64 v[140:141], v[44:45], v[142:143], -v[46:47]
	s_waitcnt lgkmcnt(2)
	v_mul_f64 v[142:143], v[66:67], v[146:147]
	v_mul_f64 v[44:45], v[66:67], v[144:145]
	v_fmac_f64_e32 v[142:143], v[64:65], v[144:145]
	v_fma_f64 v[64:65], v[64:65], v[146:147], -v[44:45]
	v_mul_f64 v[66:67], v[62:63], v[138:139]
	v_mul_f64 v[44:45], v[62:63], v[136:137]
	v_fmac_f64_e32 v[66:67], v[60:61], v[136:137]
	v_fma_f64 v[60:61], v[60:61], v[138:139], -v[44:45]
	s_waitcnt lgkmcnt(1)
	v_mul_f64 v[136:137], v[58:59], v[134:135]
	v_mul_f64 v[44:45], v[58:59], v[132:133]
	v_fma_f64 v[50:51], v[48:49], v[150:151], -v[50:51]
	v_fmac_f64_e32 v[136:137], v[56:57], v[132:133]
	v_fma_f64 v[132:133], v[56:57], v[134:135], -v[44:45]
	s_waitcnt lgkmcnt(0)
	v_mul_f64 v[134:135], v[54:55], v[130:131]
	v_mul_f64 v[44:45], v[54:55], v[128:129]
	v_add_f64 v[46:47], v[160:161], v[148:149]
	s_mov_b32 s0, 0xe8584caa
	v_fmac_f64_e32 v[134:135], v[52:53], v[128:129]
	v_fma_f64 v[128:129], v[52:53], v[130:131], -v[44:45]
	v_add_f64 v[44:45], v[124:125], v[160:161]
	v_fmac_f64_e32 v[124:125], -0.5, v[46:47]
	v_add_f64 v[46:47], v[50:51], -v[140:141]
	s_mov_b32 s1, 0xbfebb67a
	s_mov_b32 s8, s0
	v_fma_f64 v[48:49], s[0:1], v[46:47], v[124:125]
	v_fmac_f64_e32 v[124:125], s[8:9], v[46:47]
	v_add_f64 v[46:47], v[126:127], v[50:51]
	v_add_f64 v[50:51], v[50:51], v[140:141]
	v_fmac_f64_e32 v[126:127], -0.5, v[50:51]
	v_add_f64 v[52:53], v[160:161], -v[148:149]
	v_add_f64 v[54:55], v[142:143], v[66:67]
	v_fma_f64 v[50:51], s[8:9], v[52:53], v[126:127]
	v_fmac_f64_e32 v[126:127], s[0:1], v[52:53]
	v_add_f64 v[52:53], v[108:109], v[142:143]
	v_fmac_f64_e32 v[108:109], -0.5, v[54:55]
	v_add_f64 v[54:55], v[64:65], -v[60:61]
	v_fma_f64 v[56:57], s[0:1], v[54:55], v[108:109]
	v_fmac_f64_e32 v[108:109], s[8:9], v[54:55]
	v_add_f64 v[54:55], v[110:111], v[64:65]
	v_add_f64 v[58:59], v[64:65], v[60:61]
	;; [unrolled: 1-line block ×3, first 2 shown]
	v_fmac_f64_e32 v[110:111], -0.5, v[58:59]
	v_add_f64 v[60:61], v[142:143], -v[66:67]
	v_add_f64 v[62:63], v[136:137], v[134:135]
	v_fma_f64 v[58:59], s[8:9], v[60:61], v[110:111]
	v_fmac_f64_e32 v[110:111], s[0:1], v[60:61]
	v_add_f64 v[60:61], v[104:105], v[136:137]
	v_fmac_f64_e32 v[104:105], -0.5, v[62:63]
	v_add_f64 v[62:63], v[132:133], -v[128:129]
	v_add_f64 v[52:53], v[52:53], v[66:67]
	v_fma_f64 v[64:65], s[0:1], v[62:63], v[104:105]
	v_fmac_f64_e32 v[104:105], s[8:9], v[62:63]
	v_add_f64 v[62:63], v[106:107], v[132:133]
	v_add_f64 v[66:67], v[132:133], v[128:129]
	;; [unrolled: 1-line block ×5, first 2 shown]
	v_fmac_f64_e32 v[106:107], -0.5, v[66:67]
	v_add_f64 v[128:129], v[136:137], -v[134:135]
	v_add_f64 v[60:61], v[60:61], v[134:135]
	v_fma_f64 v[66:67], s[8:9], v[128:129], v[106:107]
	v_fmac_f64_e32 v[106:107], s[0:1], v[128:129]
	s_waitcnt lgkmcnt(0)
	; wave barrier
	ds_write_b128 v164, v[44:47]
	ds_write_b128 v164, v[48:51] offset:48
	ds_write_b128 v164, v[124:127] offset:96
	ds_write_b128 v165, v[52:55]
	ds_write_b128 v165, v[56:59] offset:48
	ds_write_b128 v165, v[108:111] offset:96
	;; [unrolled: 3-line block ×3, first 2 shown]
	s_and_saveexec_b64 s[10:11], vcc
	s_cbranch_execz .LBB0_21
; %bb.20:
	v_mul_f64 v[44:45], v[42:43], v[120:121]
	v_fma_f64 v[46:47], v[40:41], v[122:123], -v[44:45]
	v_mul_f64 v[44:45], v[38:39], v[112:113]
	v_mul_f64 v[52:53], v[42:43], v[122:123]
	v_fma_f64 v[50:51], v[36:37], v[114:115], -v[44:45]
	v_fmac_f64_e32 v[52:53], v[40:41], v[120:121]
	v_mul_f64 v[40:41], v[38:39], v[114:115]
	v_add_f64 v[44:45], v[46:47], v[50:51]
	v_fmac_f64_e32 v[40:41], v[36:37], v[112:113]
	v_fma_f64 v[44:45], -0.5, v[44:45], v[118:119]
	v_add_f64 v[36:37], v[52:53], -v[40:41]
	v_fma_f64 v[38:39], s[0:1], v[36:37], v[44:45]
	v_fmac_f64_e32 v[44:45], s[8:9], v[36:37]
	v_add_f64 v[36:37], v[118:119], v[46:47]
	v_add_f64 v[48:49], v[36:37], v[50:51]
	v_add_f64 v[36:37], v[52:53], v[40:41]
	v_fma_f64 v[42:43], -0.5, v[36:37], v[116:117]
	v_add_f64 v[46:47], v[46:47], -v[50:51]
	v_fma_f64 v[36:37], s[8:9], v[46:47], v[42:43]
	v_fmac_f64_e32 v[42:43], s[0:1], v[46:47]
	v_add_f64 v[46:47], v[116:117], v[52:53]
	v_add_f64 v[46:47], v[46:47], v[40:41]
	v_and_b32_e32 v40, 0xff, v153
	v_lshl_add_u32 v40, v40, 4, v159
	ds_write_b128 v40, v[46:49] offset:1296
	ds_write_b128 v40, v[42:45] offset:1344
	;; [unrolled: 1-line block ×3, first 2 shown]
.LBB0_21:
	s_or_b64 exec, exec, s[10:11]
	s_waitcnt lgkmcnt(0)
	; wave barrier
	s_waitcnt lgkmcnt(0)
	ds_read_b128 v[36:39], v157
	ds_read_b128 v[48:51], v157 offset:144
	ds_read_b128 v[52:55], v157 offset:288
	;; [unrolled: 1-line block ×9, first 2 shown]
	s_waitcnt lgkmcnt(8)
	v_mul_f64 v[46:47], v[82:83], v[50:51]
	v_fmac_f64_e32 v[46:47], v[80:81], v[48:49]
	v_mul_f64 v[48:49], v[82:83], v[48:49]
	v_fma_f64 v[48:49], v[80:81], v[50:51], -v[48:49]
	s_waitcnt lgkmcnt(7)
	v_mul_f64 v[50:51], v[78:79], v[54:55]
	v_fmac_f64_e32 v[50:51], v[76:77], v[52:53]
	v_mul_f64 v[52:53], v[78:79], v[52:53]
	v_fma_f64 v[52:53], v[76:77], v[54:55], -v[52:53]
	;; [unrolled: 5-line block ×5, first 2 shown]
	s_waitcnt lgkmcnt(3)
	v_mul_f64 v[66:67], v[94:95], v[106:107]
	v_fmac_f64_e32 v[66:67], v[92:93], v[104:105]
	s_waitcnt lgkmcnt(1)
	v_mul_f64 v[74:75], v[86:87], v[114:115]
	v_mul_f64 v[76:77], v[86:87], v[112:113]
	;; [unrolled: 1-line block ×3, first 2 shown]
	v_fmac_f64_e32 v[74:75], v[84:85], v[112:113]
	v_fma_f64 v[76:77], v[84:85], v[114:115], -v[76:77]
	v_add_f64 v[84:85], v[58:59], v[66:67]
	s_mov_b32 s12, 0x134454ff
	v_mov_b32_e32 v40, s2
	v_mov_b32_e32 v41, s3
	v_mad_u64_u32 v[42:43], s[0:1], s6, v156, 0
	v_fma_f64 v[68:69], v[92:93], v[106:107], -v[68:69]
	v_mul_f64 v[70:71], v[90:91], v[110:111]
	v_mul_f64 v[72:73], v[90:91], v[108:109]
	v_fma_f64 v[84:85], -0.5, v[84:85], v[36:37]
	v_add_f64 v[86:87], v[52:53], -v[76:77]
	s_mov_b32 s13, 0xbfee6f0e
	s_mov_b32 s10, 0x4755a5e
	;; [unrolled: 1-line block ×4, first 2 shown]
	v_fmac_f64_e32 v[70:71], v[88:89], v[108:109]
	v_fma_f64 v[72:73], v[88:89], v[110:111], -v[72:73]
	v_fma_f64 v[88:89], s[12:13], v[86:87], v[84:85]
	v_add_f64 v[90:91], v[60:61], -v[68:69]
	s_mov_b32 s11, 0xbfe2cf23
	v_add_f64 v[92:93], v[50:51], -v[58:59]
	v_add_f64 v[94:95], v[74:75], -v[66:67]
	s_mov_b32 s8, 0x372fe950
	v_fmac_f64_e32 v[84:85], s[2:3], v[86:87]
	s_mov_b32 s1, 0x3fe2cf23
	s_mov_b32 s0, s10
	v_fmac_f64_e32 v[88:89], s[10:11], v[90:91]
	v_add_f64 v[92:93], v[92:93], v[94:95]
	s_mov_b32 s9, 0x3fd3c6ef
	v_fmac_f64_e32 v[84:85], s[0:1], v[90:91]
	v_fmac_f64_e32 v[88:89], s[8:9], v[92:93]
	v_fmac_f64_e32 v[84:85], s[8:9], v[92:93]
	v_add_f64 v[92:93], v[50:51], v[74:75]
	v_add_f64 v[82:83], v[36:37], v[50:51]
	v_fmac_f64_e32 v[36:37], -0.5, v[92:93]
	v_add_f64 v[82:83], v[82:83], v[58:59]
	v_fma_f64 v[92:93], s[2:3], v[90:91], v[36:37]
	v_add_f64 v[94:95], v[58:59], -v[50:51]
	v_add_f64 v[96:97], v[66:67], -v[74:75]
	v_fmac_f64_e32 v[36:37], s[12:13], v[90:91]
	v_add_f64 v[90:91], v[60:61], v[68:69]
	v_add_f64 v[82:83], v[82:83], v[66:67]
	v_fmac_f64_e32 v[92:93], s[10:11], v[86:87]
	v_add_f64 v[94:95], v[94:95], v[96:97]
	v_fmac_f64_e32 v[36:37], s[0:1], v[86:87]
	v_fma_f64 v[90:91], -0.5, v[90:91], v[38:39]
	v_add_f64 v[50:51], v[50:51], -v[74:75]
	v_add_f64 v[82:83], v[82:83], v[74:75]
	v_fmac_f64_e32 v[92:93], s[8:9], v[94:95]
	v_fmac_f64_e32 v[36:37], s[8:9], v[94:95]
	v_fma_f64 v[94:95], s[2:3], v[50:51], v[90:91]
	v_add_f64 v[58:59], v[58:59], -v[66:67]
	v_add_f64 v[66:67], v[52:53], -v[60:61]
	;; [unrolled: 1-line block ×3, first 2 shown]
	v_fmac_f64_e32 v[90:91], s[12:13], v[50:51]
	v_fmac_f64_e32 v[94:95], s[0:1], v[58:59]
	v_add_f64 v[66:67], v[66:67], v[74:75]
	v_fmac_f64_e32 v[90:91], s[10:11], v[58:59]
	v_fmac_f64_e32 v[94:95], s[8:9], v[66:67]
	;; [unrolled: 1-line block ×3, first 2 shown]
	v_add_f64 v[66:67], v[52:53], v[76:77]
	v_add_f64 v[86:87], v[38:39], v[52:53]
	v_fmac_f64_e32 v[38:39], -0.5, v[66:67]
	v_fma_f64 v[96:97], s[12:13], v[58:59], v[38:39]
	v_fmac_f64_e32 v[38:39], s[2:3], v[58:59]
	v_fmac_f64_e32 v[96:97], s[0:1], v[50:51]
	;; [unrolled: 1-line block ×3, first 2 shown]
	v_add_f64 v[50:51], v[46:47], v[54:55]
	s_waitcnt lgkmcnt(0)
	v_mul_f64 v[78:79], v[102:103], v[118:119]
	v_add_f64 v[50:51], v[50:51], v[62:63]
	v_fmac_f64_e32 v[78:79], v[100:101], v[116:117]
	v_mul_f64 v[80:81], v[102:103], v[116:117]
	v_add_f64 v[50:51], v[50:51], v[70:71]
	v_fma_f64 v[80:81], v[100:101], v[118:119], -v[80:81]
	v_add_f64 v[86:87], v[86:87], v[60:61]
	v_add_f64 v[52:53], v[60:61], -v[52:53]
	v_add_f64 v[60:61], v[68:69], -v[76:77]
	v_add_f64 v[74:75], v[50:51], v[78:79]
	v_add_f64 v[50:51], v[62:63], v[70:71]
	;; [unrolled: 1-line block ×4, first 2 shown]
	v_fma_f64 v[68:69], -0.5, v[50:51], v[46:47]
	v_add_f64 v[50:51], v[56:57], -v[80:81]
	v_fmac_f64_e32 v[96:97], s[8:9], v[52:53]
	v_fmac_f64_e32 v[38:39], s[8:9], v[52:53]
	v_fma_f64 v[60:61], s[12:13], v[50:51], v[68:69]
	v_add_f64 v[52:53], v[64:65], -v[72:73]
	v_add_f64 v[58:59], v[54:55], -v[62:63]
	;; [unrolled: 1-line block ×3, first 2 shown]
	v_fmac_f64_e32 v[68:69], s[2:3], v[50:51]
	v_fmac_f64_e32 v[60:61], s[10:11], v[52:53]
	v_add_f64 v[58:59], v[58:59], v[66:67]
	v_fmac_f64_e32 v[68:69], s[0:1], v[52:53]
	v_fmac_f64_e32 v[60:61], s[8:9], v[58:59]
	;; [unrolled: 1-line block ×3, first 2 shown]
	v_add_f64 v[58:59], v[54:55], v[78:79]
	v_fmac_f64_e32 v[46:47], -0.5, v[58:59]
	v_add_f64 v[86:87], v[86:87], v[76:77]
	v_fma_f64 v[76:77], s[2:3], v[52:53], v[46:47]
	v_fmac_f64_e32 v[46:47], s[12:13], v[52:53]
	v_fmac_f64_e32 v[76:77], s[10:11], v[50:51]
	;; [unrolled: 1-line block ×3, first 2 shown]
	v_add_f64 v[50:51], v[48:49], v[56:57]
	v_add_f64 v[50:51], v[50:51], v[64:65]
	;; [unrolled: 1-line block ×3, first 2 shown]
	v_add_f64 v[58:59], v[62:63], -v[54:55]
	v_add_f64 v[66:67], v[70:71], -v[78:79]
	v_add_f64 v[98:99], v[50:51], v[80:81]
	v_add_f64 v[50:51], v[64:65], v[72:73]
	;; [unrolled: 1-line block ×3, first 2 shown]
	v_fma_f64 v[100:101], -0.5, v[50:51], v[48:49]
	v_add_f64 v[50:51], v[54:55], -v[78:79]
	v_fmac_f64_e32 v[76:77], s[8:9], v[58:59]
	v_fmac_f64_e32 v[46:47], s[8:9], v[58:59]
	v_fma_f64 v[78:79], s[2:3], v[50:51], v[100:101]
	v_add_f64 v[52:53], v[62:63], -v[70:71]
	v_add_f64 v[54:55], v[56:57], -v[64:65]
	;; [unrolled: 1-line block ×3, first 2 shown]
	v_fmac_f64_e32 v[100:101], s[12:13], v[50:51]
	v_fmac_f64_e32 v[78:79], s[0:1], v[52:53]
	v_add_f64 v[54:55], v[54:55], v[58:59]
	v_fmac_f64_e32 v[100:101], s[10:11], v[52:53]
	v_fmac_f64_e32 v[78:79], s[8:9], v[54:55]
	;; [unrolled: 1-line block ×3, first 2 shown]
	v_add_f64 v[54:55], v[56:57], v[80:81]
	v_fmac_f64_e32 v[48:49], -0.5, v[54:55]
	v_fma_f64 v[70:71], s[12:13], v[52:53], v[48:49]
	v_add_f64 v[54:55], v[64:65], -v[56:57]
	v_add_f64 v[56:57], v[72:73], -v[80:81]
	v_fmac_f64_e32 v[48:49], s[2:3], v[52:53]
	v_fmac_f64_e32 v[70:71], s[0:1], v[50:51]
	v_add_f64 v[54:55], v[54:55], v[56:57]
	v_fmac_f64_e32 v[48:49], s[10:11], v[50:51]
	v_fmac_f64_e32 v[70:71], s[8:9], v[54:55]
	;; [unrolled: 1-line block ×3, first 2 shown]
	s_mov_b32 s14, 0x9b97f4a8
	v_mul_f64 v[80:81], v[70:71], s[12:13]
	v_mul_f64 v[102:103], v[48:49], s[12:13]
	s_mov_b32 s13, 0xbfd3c6ef
	s_mov_b32 s12, s8
	v_mul_f64 v[72:73], v[78:79], s[10:11]
	s_mov_b32 s15, 0x3fe9e377
	v_mul_f64 v[104:105], v[100:101], s[10:11]
	s_mov_b32 s11, 0xbfe9e377
	s_mov_b32 s10, s14
	v_mul_f64 v[110:111], v[48:49], s[12:13]
	v_fmac_f64_e32 v[102:103], s[12:13], v[46:47]
	v_mul_f64 v[106:107], v[78:79], s[14:15]
	v_mul_f64 v[108:109], v[70:71], s[8:9]
	v_fmac_f64_e32 v[110:111], s[2:3], v[46:47]
	v_mul_f64 v[100:101], v[100:101], s[10:11]
	v_add_f64 v[50:51], v[82:83], v[74:75]
	v_fmac_f64_e32 v[72:73], s[14:15], v[60:61]
	v_fmac_f64_e32 v[80:81], s[8:9], v[76:77]
	v_add_f64 v[62:63], v[36:37], v[102:103]
	v_fmac_f64_e32 v[104:105], s[10:11], v[68:69]
	v_add_f64 v[52:53], v[86:87], v[98:99]
	v_fmac_f64_e32 v[106:107], s[0:1], v[60:61]
	v_fmac_f64_e32 v[108:109], s[2:3], v[76:77]
	v_add_f64 v[64:65], v[38:39], v[110:111]
	v_fmac_f64_e32 v[100:101], s[0:1], v[68:69]
	v_add_f64 v[36:37], v[36:37], -v[102:103]
	v_add_f64 v[38:39], v[38:39], -v[110:111]
	v_add_f64 v[54:55], v[88:89], v[72:73]
	v_add_f64 v[58:59], v[92:93], v[80:81]
	;; [unrolled: 1-line block ×6, first 2 shown]
	v_add_f64 v[46:47], v[82:83], -v[74:75]
	v_add_f64 v[70:71], v[88:89], -v[72:73]
	;; [unrolled: 1-line block ×8, first 2 shown]
	ds_write_b128 v157, v[50:53]
	ds_write_b128 v157, v[54:57] offset:144
	ds_write_b128 v157, v[58:61] offset:288
	;; [unrolled: 1-line block ×9, first 2 shown]
	s_waitcnt lgkmcnt(0)
	; wave barrier
	s_waitcnt lgkmcnt(0)
	ds_read_b128 v[36:39], v157
	v_mov_b32_e32 v44, v43
	v_mad_u64_u32 v[44:45], s[0:1], s7, v156, v[44:45]
	v_mov_b32_e32 v43, v44
	ds_read_b128 v[44:47], v157 offset:144
	s_waitcnt lgkmcnt(1)
	v_mul_f64 v[48:49], v[14:15], v[38:39]
	s_mov_b32 s0, 0x16c16c17
	v_mul_f64 v[14:15], v[14:15], v[36:37]
	v_fmac_f64_e32 v[48:49], v[12:13], v[36:37]
	s_mov_b32 s1, 0x3f86c16c
	v_fma_f64 v[12:13], v[12:13], v[38:39], -v[14:15]
	v_mad_u64_u32 v[36:37], s[2:3], s4, v152, 0
	v_mul_f64 v[50:51], v[12:13], s[0:1]
	v_mov_b32_e32 v12, v37
	v_mad_u64_u32 v[12:13], s[2:3], s5, v152, v[12:13]
	v_mov_b32_e32 v37, v12
	ds_read_b128 v[12:15], v157 offset:480
	v_lshl_add_u64 v[52:53], v[42:43], 4, v[40:41]
	v_lshl_add_u64 v[54:55], v[36:37], 4, v[52:53]
	ds_read_b128 v[36:39], v157 offset:288
	s_mul_i32 s2, s5, 30
	s_waitcnt lgkmcnt(1)
	v_mul_f64 v[40:41], v[2:3], v[14:15]
	v_mul_f64 v[2:3], v[2:3], v[12:13]
	v_fmac_f64_e32 v[40:41], v[0:1], v[12:13]
	v_fma_f64 v[0:1], v[0:1], v[14:15], -v[2:3]
	v_mul_f64 v[42:43], v[0:1], s[0:1]
	ds_read_b128 v[0:3], v157 offset:960
	ds_read_b128 v[12:15], v157 offset:1104
	s_mul_hi_u32 s3, s4, 30
	s_add_i32 s3, s3, s2
	s_mul_i32 s2, s4, 30
	v_mul_f64 v[48:49], v[48:49], s[0:1]
	s_lshl_b64 s[2:3], s[2:3], 4
	global_store_dwordx4 v[54:55], v[48:51], off
	v_mul_f64 v[40:41], v[40:41], s[0:1]
	s_mul_hi_u32 s7, s4, 0xffffffcd
	v_lshl_add_u64 v[48:49], v[54:55], 0, s[2:3]
	global_store_dwordx4 v[48:49], v[40:43], off
	s_mul_i32 s6, s5, 0xffffffcd
	s_sub_i32 s7, s7, s4
	s_waitcnt lgkmcnt(1)
	v_mul_f64 v[40:41], v[6:7], v[2:3]
	v_fmac_f64_e32 v[40:41], v[4:5], v[0:1]
	v_mul_f64 v[0:1], v[6:7], v[0:1]
	v_fma_f64 v[0:1], v[4:5], v[2:3], -v[0:1]
	ds_read_b128 v[4:7], v157 offset:624
	v_mul_f64 v[42:43], v[0:1], s[0:1]
	v_mul_f64 v[0:1], v[18:19], v[46:47]
	;; [unrolled: 1-line block ×3, first 2 shown]
	s_add_i32 s7, s7, s6
	s_mul_i32 s6, s4, 0xffffffcd
	v_mul_f64 v[40:41], v[40:41], s[0:1]
	v_lshl_add_u64 v[48:49], v[48:49], 0, s[2:3]
	v_fmac_f64_e32 v[0:1], v[16:17], v[44:45]
	v_fma_f64 v[2:3], v[16:17], v[46:47], -v[2:3]
	s_lshl_b64 s[8:9], s[6:7], 4
	global_store_dwordx4 v[48:49], v[40:43], off
	v_mul_f64 v[0:1], v[0:1], s[0:1]
	v_mul_f64 v[2:3], v[2:3], s[0:1]
	v_lshl_add_u64 v[40:41], v[48:49], 0, s[8:9]
	global_store_dwordx4 v[40:41], v[0:3], off
	ds_read_b128 v[0:3], v157 offset:768
	s_waitcnt lgkmcnt(1)
	v_mul_f64 v[16:17], v[10:11], v[6:7]
	v_fmac_f64_e32 v[16:17], v[8:9], v[4:5]
	v_mul_f64 v[4:5], v[10:11], v[4:5]
	v_fma_f64 v[4:5], v[8:9], v[6:7], -v[4:5]
	v_mul_f64 v[18:19], v[4:5], s[0:1]
	v_mul_f64 v[4:5], v[22:23], v[14:15]
	v_mul_f64 v[6:7], v[22:23], v[12:13]
	v_mul_f64 v[16:17], v[16:17], s[0:1]
	v_lshl_add_u64 v[8:9], v[40:41], 0, s[2:3]
	v_fmac_f64_e32 v[4:5], v[20:21], v[12:13]
	v_fma_f64 v[6:7], v[20:21], v[14:15], -v[6:7]
	global_store_dwordx4 v[8:9], v[16:19], off
	v_mul_f64 v[4:5], v[4:5], s[0:1]
	v_mul_f64 v[6:7], v[6:7], s[0:1]
	v_lshl_add_u64 v[8:9], v[8:9], 0, s[2:3]
	global_store_dwordx4 v[8:9], v[4:7], off
	v_lshl_add_u64 v[8:9], v[8:9], 0, s[8:9]
	v_mad_u64_u32 v[10:11], s[8:9], s4, v158, 0
	v_mul_f64 v[4:5], v[26:27], v[38:39]
	v_mul_f64 v[6:7], v[26:27], v[36:37]
	v_fmac_f64_e32 v[4:5], v[24:25], v[36:37]
	v_fma_f64 v[6:7], v[24:25], v[38:39], -v[6:7]
	v_mul_f64 v[4:5], v[4:5], s[0:1]
	v_mul_f64 v[6:7], v[6:7], s[0:1]
	global_store_dwordx4 v[8:9], v[4:7], off
	v_mov_b32_e32 v12, v11
	v_mad_u64_u32 v[12:13], s[8:9], s5, v158, v[12:13]
	s_waitcnt lgkmcnt(0)
	v_mul_f64 v[4:5], v[34:35], v[2:3]
	v_fmac_f64_e32 v[4:5], v[32:33], v[0:1]
	v_mul_f64 v[0:1], v[34:35], v[0:1]
	v_fma_f64 v[0:1], v[32:33], v[2:3], -v[0:1]
	v_mul_f64 v[6:7], v[0:1], s[0:1]
	ds_read_b128 v[0:3], v157 offset:1248
	v_mov_b32_e32 v11, v12
	v_mul_f64 v[4:5], v[4:5], s[0:1]
	v_lshl_add_u64 v[10:11], v[10:11], 4, v[52:53]
	global_store_dwordx4 v[10:11], v[4:7], off
	s_waitcnt lgkmcnt(0)
	s_nop 0
	v_mul_f64 v[4:5], v[30:31], v[2:3]
	v_fmac_f64_e32 v[4:5], v[28:29], v[0:1]
	v_mul_f64 v[0:1], v[30:31], v[0:1]
	v_fma_f64 v[0:1], v[28:29], v[2:3], -v[0:1]
	v_mul_f64 v[6:7], v[0:1], s[0:1]
	v_mov_b32_e32 v0, 0x3c0
	v_mad_u64_u32 v[0:1], s[8:9], s4, v0, v[8:9]
	s_mul_i32 s4, s5, 0x3c0
	v_mul_f64 v[4:5], v[4:5], s[0:1]
	v_add_u32_e32 v1, s4, v1
	global_store_dwordx4 v[0:1], v[4:7], off
	s_and_b64 exec, exec, vcc
	s_cbranch_execz .LBB0_23
; %bb.22:
	global_load_dwordx4 v[2:5], v[154:155], off offset:432
	global_load_dwordx4 v[6:9], v[154:155], off offset:912
	;; [unrolled: 1-line block ×3, first 2 shown]
	ds_read_b128 v[14:17], v157 offset:432
	ds_read_b128 v[18:21], v157 offset:912
	;; [unrolled: 1-line block ×3, first 2 shown]
	v_lshl_add_u64 v[26:27], s[6:7], 4, v[0:1]
	v_lshl_add_u64 v[28:29], v[26:27], 0, s[2:3]
	;; [unrolled: 1-line block ×3, first 2 shown]
	s_waitcnt vmcnt(2) lgkmcnt(2)
	v_mul_f64 v[0:1], v[16:17], v[4:5]
	v_mul_f64 v[4:5], v[14:15], v[4:5]
	s_waitcnt vmcnt(1) lgkmcnt(1)
	v_mul_f64 v[32:33], v[20:21], v[8:9]
	v_mul_f64 v[8:9], v[18:19], v[8:9]
	;; [unrolled: 3-line block ×3, first 2 shown]
	v_fmac_f64_e32 v[0:1], v[14:15], v[2:3]
	v_fma_f64 v[2:3], v[2:3], v[16:17], -v[4:5]
	v_fmac_f64_e32 v[32:33], v[18:19], v[6:7]
	v_fma_f64 v[6:7], v[6:7], v[20:21], -v[8:9]
	;; [unrolled: 2-line block ×3, first 2 shown]
	v_mul_f64 v[0:1], v[0:1], s[0:1]
	v_mul_f64 v[2:3], v[2:3], s[0:1]
	;; [unrolled: 1-line block ×6, first 2 shown]
	global_store_dwordx4 v[26:27], v[0:3], off
	global_store_dwordx4 v[28:29], v[4:7], off
	;; [unrolled: 1-line block ×3, first 2 shown]
.LBB0_23:
	s_endpgm
	.section	.rodata,"a",@progbits
	.p2align	6, 0x0
	.amdhsa_kernel bluestein_single_back_len90_dim1_dp_op_CI_CI
		.amdhsa_group_segment_fixed_size 10080
		.amdhsa_private_segment_fixed_size 0
		.amdhsa_kernarg_size 104
		.amdhsa_user_sgpr_count 2
		.amdhsa_user_sgpr_dispatch_ptr 0
		.amdhsa_user_sgpr_queue_ptr 0
		.amdhsa_user_sgpr_kernarg_segment_ptr 1
		.amdhsa_user_sgpr_dispatch_id 0
		.amdhsa_user_sgpr_kernarg_preload_length 0
		.amdhsa_user_sgpr_kernarg_preload_offset 0
		.amdhsa_user_sgpr_private_segment_size 0
		.amdhsa_uses_dynamic_stack 0
		.amdhsa_enable_private_segment 0
		.amdhsa_system_sgpr_workgroup_id_x 1
		.amdhsa_system_sgpr_workgroup_id_y 0
		.amdhsa_system_sgpr_workgroup_id_z 0
		.amdhsa_system_sgpr_workgroup_info 0
		.amdhsa_system_vgpr_workitem_id 0
		.amdhsa_next_free_vgpr 204
		.amdhsa_next_free_sgpr 20
		.amdhsa_accum_offset 204
		.amdhsa_reserve_vcc 1
		.amdhsa_float_round_mode_32 0
		.amdhsa_float_round_mode_16_64 0
		.amdhsa_float_denorm_mode_32 3
		.amdhsa_float_denorm_mode_16_64 3
		.amdhsa_dx10_clamp 1
		.amdhsa_ieee_mode 1
		.amdhsa_fp16_overflow 0
		.amdhsa_tg_split 0
		.amdhsa_exception_fp_ieee_invalid_op 0
		.amdhsa_exception_fp_denorm_src 0
		.amdhsa_exception_fp_ieee_div_zero 0
		.amdhsa_exception_fp_ieee_overflow 0
		.amdhsa_exception_fp_ieee_underflow 0
		.amdhsa_exception_fp_ieee_inexact 0
		.amdhsa_exception_int_div_zero 0
	.end_amdhsa_kernel
	.text
.Lfunc_end0:
	.size	bluestein_single_back_len90_dim1_dp_op_CI_CI, .Lfunc_end0-bluestein_single_back_len90_dim1_dp_op_CI_CI
                                        ; -- End function
	.section	.AMDGPU.csdata,"",@progbits
; Kernel info:
; codeLenInByte = 9580
; NumSgprs: 26
; NumVgprs: 204
; NumAgprs: 0
; TotalNumVgprs: 204
; ScratchSize: 0
; MemoryBound: 0
; FloatMode: 240
; IeeeMode: 1
; LDSByteSize: 10080 bytes/workgroup (compile time only)
; SGPRBlocks: 3
; VGPRBlocks: 25
; NumSGPRsForWavesPerEU: 26
; NumVGPRsForWavesPerEU: 204
; AccumOffset: 204
; Occupancy: 2
; WaveLimiterHint : 1
; COMPUTE_PGM_RSRC2:SCRATCH_EN: 0
; COMPUTE_PGM_RSRC2:USER_SGPR: 2
; COMPUTE_PGM_RSRC2:TRAP_HANDLER: 0
; COMPUTE_PGM_RSRC2:TGID_X_EN: 1
; COMPUTE_PGM_RSRC2:TGID_Y_EN: 0
; COMPUTE_PGM_RSRC2:TGID_Z_EN: 0
; COMPUTE_PGM_RSRC2:TIDIG_COMP_CNT: 0
; COMPUTE_PGM_RSRC3_GFX90A:ACCUM_OFFSET: 50
; COMPUTE_PGM_RSRC3_GFX90A:TG_SPLIT: 0
	.text
	.p2alignl 6, 3212836864
	.fill 256, 4, 3212836864
	.type	__hip_cuid_b56454004b98e6e4,@object ; @__hip_cuid_b56454004b98e6e4
	.section	.bss,"aw",@nobits
	.globl	__hip_cuid_b56454004b98e6e4
__hip_cuid_b56454004b98e6e4:
	.byte	0                               ; 0x0
	.size	__hip_cuid_b56454004b98e6e4, 1

	.ident	"AMD clang version 19.0.0git (https://github.com/RadeonOpenCompute/llvm-project roc-6.4.0 25133 c7fe45cf4b819c5991fe208aaa96edf142730f1d)"
	.section	".note.GNU-stack","",@progbits
	.addrsig
	.addrsig_sym __hip_cuid_b56454004b98e6e4
	.amdgpu_metadata
---
amdhsa.kernels:
  - .agpr_count:     0
    .args:
      - .actual_access:  read_only
        .address_space:  global
        .offset:         0
        .size:           8
        .value_kind:     global_buffer
      - .actual_access:  read_only
        .address_space:  global
        .offset:         8
        .size:           8
        .value_kind:     global_buffer
      - .actual_access:  read_only
        .address_space:  global
        .offset:         16
        .size:           8
        .value_kind:     global_buffer
      - .actual_access:  read_only
        .address_space:  global
        .offset:         24
        .size:           8
        .value_kind:     global_buffer
      - .actual_access:  read_only
        .address_space:  global
        .offset:         32
        .size:           8
        .value_kind:     global_buffer
      - .offset:         40
        .size:           8
        .value_kind:     by_value
      - .address_space:  global
        .offset:         48
        .size:           8
        .value_kind:     global_buffer
      - .address_space:  global
        .offset:         56
        .size:           8
        .value_kind:     global_buffer
      - .address_space:  global
        .offset:         64
        .size:           8
        .value_kind:     global_buffer
      - .address_space:  global
        .offset:         72
        .size:           8
        .value_kind:     global_buffer
      - .offset:         80
        .size:           4
        .value_kind:     by_value
      - .address_space:  global
        .offset:         88
        .size:           8
        .value_kind:     global_buffer
      - .address_space:  global
        .offset:         96
        .size:           8
        .value_kind:     global_buffer
    .group_segment_fixed_size: 10080
    .kernarg_segment_align: 8
    .kernarg_segment_size: 104
    .language:       OpenCL C
    .language_version:
      - 2
      - 0
    .max_flat_workgroup_size: 63
    .name:           bluestein_single_back_len90_dim1_dp_op_CI_CI
    .private_segment_fixed_size: 0
    .sgpr_count:     26
    .sgpr_spill_count: 0
    .symbol:         bluestein_single_back_len90_dim1_dp_op_CI_CI.kd
    .uniform_work_group_size: 1
    .uses_dynamic_stack: false
    .vgpr_count:     204
    .vgpr_spill_count: 0
    .wavefront_size: 64
amdhsa.target:   amdgcn-amd-amdhsa--gfx950
amdhsa.version:
  - 1
  - 2
...

	.end_amdgpu_metadata
